;; amdgpu-corpus repo=ROCm/rocFFT kind=compiled arch=gfx906 opt=O3
	.text
	.amdgcn_target "amdgcn-amd-amdhsa--gfx906"
	.amdhsa_code_object_version 6
	.protected	bluestein_single_back_len40_dim1_dp_op_CI_CI ; -- Begin function bluestein_single_back_len40_dim1_dp_op_CI_CI
	.globl	bluestein_single_back_len40_dim1_dp_op_CI_CI
	.p2align	8
	.type	bluestein_single_back_len40_dim1_dp_op_CI_CI,@function
bluestein_single_back_len40_dim1_dp_op_CI_CI: ; @bluestein_single_back_len40_dim1_dp_op_CI_CI
; %bb.0:
	v_mul_u32_u24_e32 v1, 0x199a, v0
	s_load_dwordx4 s[0:3], s[4:5], 0x28
	v_lshrrev_b32_e32 v1, 16, v1
	v_mad_u64_u32 v[52:53], s[6:7], s6, 12, v[1:2]
	v_mov_b32_e32 v53, 0
	s_waitcnt lgkmcnt(0)
	v_cmp_gt_u64_e32 vcc, s[0:1], v[52:53]
	s_and_saveexec_b64 s[0:1], vcc
	s_cbranch_execz .LBB0_15
; %bb.1:
	s_mov_b32 s0, 0xaaaaaaab
	v_mul_hi_u32 v2, v52, s0
	s_load_dwordx2 s[12:13], s[4:5], 0x0
	s_load_dwordx2 s[6:7], s[4:5], 0x38
	v_mul_lo_u16_e32 v1, 10, v1
	v_sub_u16_e32 v63, v0, v1
	v_lshrrev_b32_e32 v2, 3, v2
	v_mul_lo_u32 v2, v2, 12
	v_cmp_gt_u16_e32 vcc, 4, v63
	v_lshlrev_b32_e32 v67, 4, v63
	v_or_b32_e32 v64, 4, v63
	v_sub_u32_e32 v0, v52, v2
	v_mul_u32_u24_e32 v72, 40, v0
	v_or_b32_e32 v0, v72, v63
	v_lshlrev_b32_e32 v68, 4, v0
	v_add_lshl_u32 v69, v72, v63, 4
	v_or_b32_e32 v65, 8, v63
	v_or_b32_e32 v66, 12, v63
	;; [unrolled: 1-line block ×8, first 2 shown]
	s_and_saveexec_b64 s[14:15], vcc
	s_cbranch_execz .LBB0_3
; %bb.2:
	s_load_dwordx2 s[0:1], s[4:5], 0x18
	v_mov_b32_e32 v8, s3
	s_waitcnt lgkmcnt(0)
	s_load_dwordx4 s[8:11], s[0:1], 0x0
	s_waitcnt lgkmcnt(0)
	v_mad_u64_u32 v[0:1], s[0:1], s10, v52, 0
	v_mad_u64_u32 v[2:3], s[0:1], s8, v63, 0
	;; [unrolled: 1-line block ×5, first 2 shown]
	v_mov_b32_e32 v1, v4
	v_lshlrev_b64 v[0:1], 4, v[0:1]
	v_mov_b32_e32 v4, v7
	v_add_co_u32_e64 v0, s[0:1], s2, v0
	v_mov_b32_e32 v3, v5
	v_addc_co_u32_e64 v1, s[0:1], v8, v1, s[0:1]
	v_mad_u64_u32 v[4:5], s[0:1], s9, v64, v[4:5]
	v_lshlrev_b64 v[2:3], 4, v[2:3]
	v_add_co_u32_e64 v10, s[0:1], v0, v2
	v_addc_co_u32_e64 v11, s[0:1], v1, v3, s[0:1]
	v_mov_b32_e32 v7, v4
	v_mad_u64_u32 v[18:19], s[0:1], s8, v65, 0
	v_lshlrev_b64 v[2:3], 4, v[6:7]
	v_add_co_u32_e64 v12, s[0:1], v0, v2
	v_addc_co_u32_e64 v13, s[0:1], v1, v3, s[0:1]
	global_load_dwordx4 v[2:5], v[10:11], off
	global_load_dwordx4 v[6:9], v[12:13], off
	v_mov_b32_e32 v10, v19
	v_mad_u64_u32 v[19:20], s[0:1], s9, v65, v[10:11]
	v_mad_u64_u32 v[20:21], s[0:1], s8, v66, 0
	v_lshlrev_b64 v[18:19], 4, v[18:19]
	global_load_dwordx4 v[10:13], v67, s[12:13]
	global_load_dwordx4 v[14:17], v67, s[12:13] offset:64
	v_mad_u64_u32 v[21:22], s[0:1], s9, v66, v[21:22]
	v_add_co_u32_e64 v26, s[0:1], v0, v18
	v_addc_co_u32_e64 v27, s[0:1], v1, v19, s[0:1]
	v_mad_u64_u32 v[34:35], s[0:1], s8, v62, 0
	v_lshlrev_b64 v[18:19], 4, v[20:21]
	v_add_co_u32_e64 v28, s[0:1], v0, v18
	v_addc_co_u32_e64 v29, s[0:1], v1, v19, s[0:1]
	global_load_dwordx4 v[18:21], v[26:27], off
	global_load_dwordx4 v[22:25], v[28:29], off
	v_mov_b32_e32 v26, v35
	v_mad_u64_u32 v[35:36], s[0:1], s9, v62, v[26:27]
	v_mad_u64_u32 v[36:37], s[0:1], s8, v61, 0
	v_lshlrev_b64 v[34:35], 4, v[34:35]
	global_load_dwordx4 v[26:29], v67, s[12:13] offset:128
	global_load_dwordx4 v[30:33], v67, s[12:13] offset:192
	v_mad_u64_u32 v[37:38], s[0:1], s9, v61, v[37:38]
	v_add_co_u32_e64 v42, s[0:1], v0, v34
	v_addc_co_u32_e64 v43, s[0:1], v1, v35, s[0:1]
	v_mad_u64_u32 v[50:51], s[0:1], s8, v60, 0
	v_lshlrev_b64 v[34:35], 4, v[36:37]
	v_add_co_u32_e64 v44, s[0:1], v0, v34
	v_addc_co_u32_e64 v45, s[0:1], v1, v35, s[0:1]
	global_load_dwordx4 v[34:37], v[42:43], off
	global_load_dwordx4 v[38:41], v[44:45], off
	v_mov_b32_e32 v42, v51
	v_mad_u64_u32 v[53:54], s[0:1], s9, v60, v[42:43]
	v_mad_u64_u32 v[54:55], s[0:1], s8, v59, 0
	v_mov_b32_e32 v51, v53
	v_lshlrev_b64 v[50:51], 4, v[50:51]
	v_mov_b32_e32 v53, v55
	v_mad_u64_u32 v[55:56], s[0:1], s9, v59, v[53:54]
	v_add_co_u32_e64 v50, s[0:1], v0, v50
	v_addc_co_u32_e64 v51, s[0:1], v1, v51, s[0:1]
	v_mad_u64_u32 v[70:71], s[0:1], s8, v58, 0
	v_lshlrev_b64 v[53:54], 4, v[54:55]
	global_load_dwordx4 v[42:45], v67, s[12:13] offset:256
	global_load_dwordx4 v[46:49], v67, s[12:13] offset:320
	v_add_co_u32_e64 v77, s[0:1], v0, v53
	v_addc_co_u32_e64 v78, s[0:1], v1, v54, s[0:1]
	global_load_dwordx4 v[53:56], v[50:51], off
	global_load_dwordx4 v[73:76], v[77:78], off
	v_mov_b32_e32 v50, v71
	v_mad_u64_u32 v[50:51], s[0:1], s9, v58, v[50:51]
	v_mad_u64_u32 v[89:90], s[0:1], s8, v57, 0
	v_mov_b32_e32 v71, v50
	v_lshlrev_b64 v[50:51], 4, v[70:71]
	v_mov_b32_e32 v70, v90
	v_mad_u64_u32 v[70:71], s[0:1], s9, v57, v[70:71]
	v_add_co_u32_e64 v50, s[0:1], v0, v50
	v_mov_b32_e32 v90, v70
	v_lshlrev_b64 v[70:71], 4, v[89:90]
	global_load_dwordx4 v[77:80], v67, s[12:13] offset:384
	global_load_dwordx4 v[81:84], v67, s[12:13] offset:448
	v_addc_co_u32_e64 v51, s[0:1], v1, v51, s[0:1]
	global_load_dwordx4 v[85:88], v67, s[12:13] offset:512
	v_add_co_u32_e64 v0, s[0:1], v0, v70
	v_addc_co_u32_e64 v1, s[0:1], v1, v71, s[0:1]
	global_load_dwordx4 v[89:92], v[50:51], off
	global_load_dwordx4 v[93:96], v[0:1], off
	global_load_dwordx4 v[97:100], v67, s[12:13] offset:576
	s_waitcnt vmcnt(17)
	v_mul_f64 v[0:1], v[4:5], v[12:13]
	v_mul_f64 v[12:13], v[2:3], v[12:13]
	s_waitcnt vmcnt(16)
	v_mul_f64 v[50:51], v[8:9], v[16:17]
	v_mul_f64 v[16:17], v[6:7], v[16:17]
	v_fma_f64 v[0:1], v[2:3], v[10:11], v[0:1]
	v_fma_f64 v[2:3], v[4:5], v[10:11], -v[12:13]
	v_fma_f64 v[4:5], v[6:7], v[14:15], v[50:51]
	v_fma_f64 v[6:7], v[8:9], v[14:15], -v[16:17]
	ds_write_b128 v68, v[0:3]
	ds_write_b128 v69, v[4:7] offset:64
	s_waitcnt vmcnt(13)
	v_mul_f64 v[8:9], v[20:21], v[28:29]
	v_mul_f64 v[2:3], v[18:19], v[28:29]
	s_waitcnt vmcnt(12)
	v_mul_f64 v[4:5], v[24:25], v[32:33]
	v_mul_f64 v[6:7], v[22:23], v[32:33]
	v_lshl_add_u32 v32, v72, 4, v67
	v_fma_f64 v[0:1], v[18:19], v[26:27], v[8:9]
	v_fma_f64 v[2:3], v[20:21], v[26:27], -v[2:3]
	v_fma_f64 v[4:5], v[22:23], v[30:31], v[4:5]
	v_fma_f64 v[6:7], v[24:25], v[30:31], -v[6:7]
	s_waitcnt vmcnt(9)
	v_mul_f64 v[8:9], v[36:37], v[44:45]
	v_mul_f64 v[10:11], v[34:35], v[44:45]
	s_waitcnt vmcnt(8)
	v_mul_f64 v[12:13], v[40:41], v[48:49]
	v_mul_f64 v[14:15], v[38:39], v[48:49]
	v_fma_f64 v[8:9], v[34:35], v[42:43], v[8:9]
	v_fma_f64 v[10:11], v[36:37], v[42:43], -v[10:11]
	v_fma_f64 v[12:13], v[38:39], v[46:47], v[12:13]
	v_fma_f64 v[14:15], v[40:41], v[46:47], -v[14:15]
	s_waitcnt vmcnt(5)
	v_mul_f64 v[16:17], v[55:56], v[79:80]
	v_mul_f64 v[18:19], v[53:54], v[79:80]
	s_waitcnt vmcnt(4)
	v_mul_f64 v[20:21], v[75:76], v[83:84]
	v_mul_f64 v[22:23], v[73:74], v[83:84]
	;; [unrolled: 3-line block ×4, first 2 shown]
	v_fma_f64 v[16:17], v[53:54], v[77:78], v[16:17]
	v_fma_f64 v[18:19], v[55:56], v[77:78], -v[18:19]
	v_fma_f64 v[20:21], v[73:74], v[81:82], v[20:21]
	v_fma_f64 v[22:23], v[75:76], v[81:82], -v[22:23]
	;; [unrolled: 2-line block ×4, first 2 shown]
	ds_write_b128 v32, v[0:3] offset:128
	ds_write_b128 v32, v[4:7] offset:192
	;; [unrolled: 1-line block ×8, first 2 shown]
.LBB0_3:
	s_or_b64 exec, exec, s[14:15]
	s_load_dwordx2 s[0:1], s[4:5], 0x20
	s_load_dwordx2 s[8:9], s[4:5], 0x8
	v_lshlrev_b32_e32 v70, 4, v72
	s_waitcnt lgkmcnt(0)
	s_barrier
	s_waitcnt lgkmcnt(0)
                                        ; implicit-def: $vgpr10_vgpr11
                                        ; implicit-def: $vgpr30_vgpr31
                                        ; implicit-def: $vgpr2_vgpr3
                                        ; implicit-def: $vgpr22_vgpr23
                                        ; implicit-def: $vgpr32_vgpr33
                                        ; implicit-def: $vgpr12_vgpr13
                                        ; implicit-def: $vgpr36_vgpr37
                                        ; implicit-def: $vgpr16_vgpr17
                                        ; implicit-def: $vgpr24_vgpr25
                                        ; implicit-def: $vgpr4_vgpr5
	s_and_saveexec_b64 s[2:3], vcc
	s_cbranch_execz .LBB0_5
; %bb.4:
	v_lshl_add_u32 v16, v63, 4, v70
	ds_read_b128 v[20:23], v68
	ds_read_b128 v[4:7], v68 offset:64
	ds_read_b128 v[24:27], v16 offset:128
	;; [unrolled: 1-line block ×9, first 2 shown]
.LBB0_5:
	s_or_b64 exec, exec, s[2:3]
	s_waitcnt lgkmcnt(3)
	v_add_f64 v[40:41], v[28:29], v[32:33]
	s_waitcnt lgkmcnt(1)
	v_add_f64 v[46:47], v[36:37], v[24:25]
	v_add_f64 v[42:43], v[20:21], v[24:25]
	v_add_f64 v[44:45], v[26:27], -v[38:39]
	v_add_f64 v[48:49], v[30:31], -v[34:35]
	s_mov_b32 s2, 0x134454ff
	s_mov_b32 s3, 0x3fee6f0e
	;; [unrolled: 1-line block ×3, first 2 shown]
	v_fma_f64 v[40:41], v[40:41], -0.5, v[20:21]
	v_fma_f64 v[20:21], v[46:47], -0.5, v[20:21]
	s_mov_b32 s4, s2
	v_add_f64 v[50:51], v[24:25], -v[28:29]
	v_add_f64 v[53:54], v[36:37], -v[32:33]
	;; [unrolled: 1-line block ×4, first 2 shown]
	s_mov_b32 s10, 0x4755a5e
	v_fma_f64 v[46:47], v[44:45], s[2:3], v[40:41]
	v_fma_f64 v[40:41], v[44:45], s[4:5], v[40:41]
	;; [unrolled: 1-line block ×4, first 2 shown]
	s_mov_b32 s11, 0x3fe2cf23
	s_mov_b32 s15, 0xbfe2cf23
	s_mov_b32 s14, s10
	v_add_f64 v[50:51], v[53:54], v[50:51]
	v_fma_f64 v[46:47], v[48:49], s[10:11], v[46:47]
	v_fma_f64 v[48:49], v[48:49], s[14:15], v[40:41]
	v_add_f64 v[53:54], v[28:29], v[42:43]
	v_add_f64 v[42:43], v[22:23], v[26:27]
	;; [unrolled: 1-line block ×3, first 2 shown]
	v_fma_f64 v[73:74], v[44:45], s[10:11], v[75:76]
	v_fma_f64 v[20:21], v[44:45], s[14:15], v[20:21]
	v_add_f64 v[44:45], v[30:31], v[34:35]
	s_mov_b32 s16, 0x372fe950
	s_mov_b32 s17, 0x3fd3c6ef
	v_fma_f64 v[40:41], v[50:51], s[16:17], v[46:47]
	v_add_f64 v[46:47], v[30:31], v[42:43]
	v_add_f64 v[75:76], v[38:39], v[26:27]
	v_fma_f64 v[77:78], v[50:51], s[16:17], v[48:49]
	v_add_f64 v[24:25], v[24:25], -v[36:37]
	v_fma_f64 v[48:49], v[44:45], -0.5, v[22:23]
	v_fma_f64 v[44:45], v[55:56], s[16:17], v[20:21]
	v_add_f64 v[20:21], v[32:33], v[53:54]
	v_add_f64 v[50:51], v[8:9], v[12:13]
	;; [unrolled: 1-line block ×3, first 2 shown]
	v_fma_f64 v[22:23], v[75:76], -0.5, v[22:23]
	v_add_f64 v[53:54], v[26:27], -v[30:31]
	v_add_f64 v[26:27], v[30:31], -v[26:27]
	v_fma_f64 v[30:31], v[24:25], s[4:5], v[48:49]
	v_add_f64 v[28:29], v[28:29], -v[32:33]
	v_add_f64 v[32:33], v[38:39], -v[34:35]
	v_fma_f64 v[48:49], v[24:25], s[2:3], v[48:49]
	v_fma_f64 v[42:43], v[55:56], s[16:17], v[73:74]
	v_add_f64 v[36:37], v[36:37], v[20:21]
	v_fma_f64 v[20:21], v[50:51], -0.5, v[4:5]
	s_waitcnt lgkmcnt(0)
	v_add_f64 v[55:56], v[2:3], -v[18:19]
	v_add_f64 v[34:35], v[34:35], -v[38:39]
	v_add_f64 v[38:39], v[38:39], v[46:47]
	v_fma_f64 v[30:31], v[28:29], s[14:15], v[30:31]
	v_add_f64 v[32:33], v[32:33], v[53:54]
	v_fma_f64 v[48:49], v[28:29], s[10:11], v[48:49]
	v_fma_f64 v[46:47], v[28:29], s[2:3], v[22:23]
	;; [unrolled: 1-line block ×4, first 2 shown]
	v_add_f64 v[53:54], v[10:11], -v[14:15]
	v_add_f64 v[50:51], v[0:1], -v[8:9]
	;; [unrolled: 1-line block ×3, first 2 shown]
	v_add_f64 v[26:27], v[34:35], v[26:27]
	v_fma_f64 v[20:21], v[55:56], s[4:5], v[20:21]
	v_fma_f64 v[34:35], v[24:25], s[14:15], v[46:47]
	;; [unrolled: 1-line block ×5, first 2 shown]
	v_add_f64 v[32:33], v[0:1], v[16:17]
	v_fma_f64 v[24:25], v[53:54], s[10:11], v[28:29]
	v_add_f64 v[28:29], v[50:51], v[73:74]
	v_fma_f64 v[20:21], v[53:54], s[14:15], v[20:21]
	v_fma_f64 v[48:49], v[26:27], s[16:17], v[34:35]
	v_add_f64 v[34:35], v[10:11], v[14:15]
	v_add_f64 v[73:74], v[2:3], v[18:19]
	v_fma_f64 v[50:51], v[26:27], s[16:17], v[22:23]
	v_add_f64 v[22:23], v[8:9], -v[0:1]
	v_add_f64 v[26:27], v[12:13], -v[16:17]
	v_fma_f64 v[32:33], v[32:33], -0.5, v[4:5]
	v_add_f64 v[4:5], v[0:1], v[4:5]
	v_fma_f64 v[24:25], v[28:29], s[16:17], v[24:25]
	v_fma_f64 v[20:21], v[28:29], s[16:17], v[20:21]
	v_fma_f64 v[28:29], v[34:35], -0.5, v[6:7]
	v_fma_f64 v[34:35], v[73:74], -0.5, v[6:7]
	v_add_f64 v[6:7], v[2:3], v[6:7]
	v_add_f64 v[22:23], v[22:23], v[26:27]
	v_fma_f64 v[26:27], v[53:54], s[4:5], v[32:33]
	v_add_f64 v[73:74], v[0:1], -v[16:17]
	v_fma_f64 v[0:1], v[53:54], s[2:3], v[32:33]
	v_add_f64 v[53:54], v[8:9], -v[12:13]
	v_add_f64 v[4:5], v[8:9], v[4:5]
	v_add_f64 v[32:33], v[2:3], -v[10:11]
	v_add_f64 v[8:9], v[18:19], -v[14:15]
	;; [unrolled: 1-line block ×4, first 2 shown]
	v_fma_f64 v[79:80], v[73:74], s[4:5], v[28:29]
	v_add_f64 v[6:7], v[10:11], v[6:7]
	v_fma_f64 v[10:11], v[73:74], s[2:3], v[28:29]
	v_fma_f64 v[28:29], v[53:54], s[2:3], v[34:35]
	v_add_f64 v[4:5], v[12:13], v[4:5]
	v_fma_f64 v[34:35], v[53:54], s[4:5], v[34:35]
	v_add_f64 v[8:9], v[32:33], v[8:9]
	;; [unrolled: 2-line block ×3, first 2 shown]
	v_fma_f64 v[2:3], v[53:54], s[14:15], v[79:80]
	v_fma_f64 v[10:11], v[53:54], s[10:11], v[10:11]
	v_fma_f64 v[28:29], v[73:74], s[14:15], v[28:29]
	v_add_f64 v[0:1], v[16:17], v[4:5]
	v_fma_f64 v[4:5], v[55:56], s[10:11], v[26:27]
	v_fma_f64 v[16:17], v[73:74], s[10:11], v[34:35]
	s_mov_b32 s18, 0x9b97f4a8
	s_mov_b32 s19, 0x3fe9e377
	v_fma_f64 v[12:13], v[22:23], s[16:17], v[12:13]
	v_add_f64 v[6:7], v[14:15], v[6:7]
	v_fma_f64 v[14:15], v[8:9], s[16:17], v[2:3]
	v_fma_f64 v[8:9], v[8:9], s[16:17], v[10:11]
	;; [unrolled: 1-line block ×3, first 2 shown]
	v_mul_f64 v[10:11], v[20:21], s[18:19]
	v_fma_f64 v[22:23], v[22:23], s[16:17], v[4:5]
	v_fma_f64 v[16:17], v[32:33], s[16:17], v[16:17]
	v_mul_f64 v[28:29], v[12:13], s[16:17]
	v_add_f64 v[2:3], v[18:19], v[6:7]
	v_mul_f64 v[6:7], v[14:15], s[10:11]
	v_mul_f64 v[4:5], v[8:9], s[18:19]
	;; [unrolled: 1-line block ×3, first 2 shown]
	v_fma_f64 v[73:74], v[8:9], s[10:11], -v[10:11]
	v_mul_f64 v[10:11], v[24:25], s[14:15]
	v_mul_f64 v[34:35], v[22:23], s[4:5]
	;; [unrolled: 1-line block ×3, first 2 shown]
	v_fma_f64 v[8:9], v[16:17], s[2:3], -v[28:29]
	v_add_f64 v[28:29], v[36:37], -v[0:1]
	v_fma_f64 v[20:21], v[20:21], s[14:15], -v[4:5]
	v_fma_f64 v[4:5], v[24:25], s[18:19], v[6:7]
	v_fma_f64 v[6:7], v[22:23], s[16:17], v[18:19]
	;; [unrolled: 1-line block ×4, first 2 shown]
	v_fma_f64 v[55:56], v[12:13], s[4:5], -v[55:56]
	v_add_f64 v[32:33], v[77:78], v[73:74]
	v_add_f64 v[24:25], v[77:78], -v[73:74]
	v_add_f64 v[34:35], v[30:31], v[20:21]
	v_add_f64 v[12:13], v[40:41], -v[4:5]
	v_add_f64 v[16:17], v[42:43], -v[6:7]
	;; [unrolled: 1-line block ×8, first 2 shown]
	v_mul_lo_u16_e32 v71, 10, v63
	s_barrier
	s_and_saveexec_b64 s[2:3], vcc
	s_cbranch_execz .LBB0_7
; %bb.6:
	v_add_f64 v[2:3], v[38:39], v[2:3]
	v_add_f64 v[0:1], v[36:37], v[0:1]
	;; [unrolled: 1-line block ×8, first 2 shown]
	v_add_lshl_u32 v4, v72, v71, 4
	ds_write_b128 v4, v[0:3]
	ds_write_b128 v4, v[73:76] offset:16
	ds_write_b128 v4, v[53:56] offset:32
	;; [unrolled: 1-line block ×9, first 2 shown]
.LBB0_7:
	s_or_b64 exec, exec, s[2:3]
	v_mad_u64_u32 v[36:37], s[4:5], v63, 48, s[8:9]
	s_load_dwordx4 s[0:3], s[0:1], 0x0
	s_waitcnt lgkmcnt(0)
	s_barrier
	global_load_dwordx4 v[8:11], v[36:37], off
	global_load_dwordx4 v[4:7], v[36:37], off offset:16
	global_load_dwordx4 v[0:3], v[36:37], off offset:32
	ds_read_b128 v[36:39], v69 offset:160
	ds_read_b128 v[40:43], v69 offset:320
	ds_read_b128 v[44:47], v69 offset:480
	ds_read_b128 v[48:51], v69
	s_waitcnt vmcnt(2) lgkmcnt(3)
	v_mul_f64 v[53:54], v[38:39], v[10:11]
	v_mul_f64 v[55:56], v[36:37], v[10:11]
	s_waitcnt vmcnt(1) lgkmcnt(2)
	v_mul_f64 v[72:73], v[42:43], v[6:7]
	v_mul_f64 v[74:75], v[40:41], v[6:7]
	;; [unrolled: 3-line block ×3, first 2 shown]
	v_fma_f64 v[36:37], v[36:37], v[8:9], -v[53:54]
	v_fma_f64 v[38:39], v[38:39], v[8:9], v[55:56]
	v_fma_f64 v[40:41], v[40:41], v[4:5], -v[72:73]
	v_fma_f64 v[42:43], v[42:43], v[4:5], v[74:75]
	;; [unrolled: 2-line block ×3, first 2 shown]
	s_waitcnt lgkmcnt(0)
	v_add_f64 v[53:54], v[48:49], -v[40:41]
	v_add_f64 v[55:56], v[50:51], -v[42:43]
	;; [unrolled: 1-line block ×4, first 2 shown]
	v_fma_f64 v[72:73], v[48:49], 2.0, -v[53:54]
	v_fma_f64 v[74:75], v[50:51], 2.0, -v[55:56]
	;; [unrolled: 1-line block ×4, first 2 shown]
	v_add_f64 v[48:49], v[53:54], -v[42:43]
	v_add_f64 v[50:51], v[55:56], v[40:41]
	v_add_f64 v[40:41], v[72:73], -v[36:37]
	v_add_f64 v[42:43], v[74:75], -v[38:39]
	v_fma_f64 v[44:45], v[53:54], 2.0, -v[48:49]
	v_fma_f64 v[46:47], v[55:56], 2.0, -v[50:51]
	v_lshl_add_u32 v53, v63, 4, v70
	v_fma_f64 v[36:37], v[72:73], 2.0, -v[40:41]
	v_fma_f64 v[38:39], v[74:75], 2.0, -v[42:43]
	ds_write_b128 v53, v[48:51] offset:480
	ds_write_b128 v53, v[44:47] offset:160
	;; [unrolled: 1-line block ×3, first 2 shown]
	ds_write_b128 v53, v[36:39]
	s_waitcnt lgkmcnt(0)
	s_barrier
	s_and_saveexec_b64 s[4:5], vcc
	s_cbranch_execz .LBB0_9
; %bb.8:
	global_load_dwordx4 v[76:79], v67, s[12:13] offset:640
	ds_read_b128 v[72:75], v68
	s_add_u32 s8, s12, 0x280
	s_addc_u32 s9, s13, 0
	s_waitcnt vmcnt(0) lgkmcnt(0)
	v_mul_f64 v[54:55], v[74:75], v[78:79]
	v_fma_f64 v[80:81], v[72:73], v[76:77], -v[54:55]
	v_mul_f64 v[54:55], v[72:73], v[78:79]
	v_fma_f64 v[82:83], v[74:75], v[76:77], v[54:55]
	global_load_dwordx4 v[76:79], v67, s[8:9] offset:64
	ds_write_b128 v68, v[80:83]
	ds_read_b128 v[72:75], v69 offset:64
	s_waitcnt vmcnt(0) lgkmcnt(0)
	v_mul_f64 v[54:55], v[74:75], v[78:79]
	v_fma_f64 v[80:81], v[72:73], v[76:77], -v[54:55]
	v_mul_f64 v[54:55], v[72:73], v[78:79]
	v_fma_f64 v[82:83], v[74:75], v[76:77], v[54:55]
	global_load_dwordx4 v[76:79], v67, s[8:9] offset:128
	ds_write_b128 v69, v[80:83] offset:64
	ds_read_b128 v[72:75], v53 offset:128
	s_waitcnt vmcnt(0) lgkmcnt(0)
	v_mul_f64 v[54:55], v[74:75], v[78:79]
	v_fma_f64 v[80:81], v[72:73], v[76:77], -v[54:55]
	v_mul_f64 v[54:55], v[72:73], v[78:79]
	v_fma_f64 v[82:83], v[74:75], v[76:77], v[54:55]
	global_load_dwordx4 v[76:79], v67, s[8:9] offset:192
	ds_read_b128 v[72:75], v53 offset:192
	ds_write_b128 v53, v[80:83] offset:128
	s_waitcnt vmcnt(0) lgkmcnt(1)
	v_mul_f64 v[54:55], v[74:75], v[78:79]
	v_fma_f64 v[80:81], v[72:73], v[76:77], -v[54:55]
	v_mul_f64 v[54:55], v[72:73], v[78:79]
	v_fma_f64 v[82:83], v[74:75], v[76:77], v[54:55]
	global_load_dwordx4 v[76:79], v67, s[8:9] offset:256
	ds_read_b128 v[72:75], v53 offset:256
	ds_write_b128 v53, v[80:83] offset:192
	;; [unrolled: 8-line block ×7, first 2 shown]
	s_waitcnt vmcnt(0) lgkmcnt(1)
	v_mul_f64 v[54:55], v[74:75], v[78:79]
	v_fma_f64 v[80:81], v[72:73], v[76:77], -v[54:55]
	v_mul_f64 v[54:55], v[72:73], v[78:79]
	v_fma_f64 v[82:83], v[74:75], v[76:77], v[54:55]
	ds_write_b128 v53, v[80:83] offset:576
.LBB0_9:
	s_or_b64 exec, exec, s[4:5]
	s_waitcnt lgkmcnt(0)
	s_barrier
	s_and_saveexec_b64 s[4:5], vcc
	s_cbranch_execz .LBB0_11
; %bb.10:
	ds_read_b128 v[36:39], v68
	ds_read_b128 v[44:47], v68 offset:64
	ds_read_b128 v[40:43], v53 offset:128
	;; [unrolled: 1-line block ×9, first 2 shown]
.LBB0_11:
	s_or_b64 exec, exec, s[4:5]
	s_waitcnt lgkmcnt(0)
	s_barrier
	s_and_saveexec_b64 s[4:5], vcc
	s_cbranch_execz .LBB0_13
; %bb.12:
	v_add_f64 v[54:55], v[42:43], -v[34:35]
	v_add_f64 v[72:73], v[22:23], -v[14:15]
	v_add_f64 v[82:83], v[22:23], v[42:43]
	v_add_f64 v[88:89], v[48:49], v[24:25]
	;; [unrolled: 1-line block ×4, first 2 shown]
	v_add_f64 v[78:79], v[48:49], -v[28:29]
	v_add_f64 v[80:81], v[24:25], -v[16:17]
	;; [unrolled: 1-line block ×3, first 2 shown]
	v_add_f64 v[54:55], v[72:73], v[54:55]
	v_add_f64 v[72:73], v[32:33], -v[12:13]
	v_add_f64 v[86:87], v[26:27], -v[18:19]
	v_fma_f64 v[82:83], v[82:83], -0.5, v[38:39]
	v_add_f64 v[90:91], v[34:35], -v[42:43]
	v_add_f64 v[92:93], v[14:15], -v[22:23]
	;; [unrolled: 1-line block ×3, first 2 shown]
	v_fma_f64 v[88:89], v[88:89], -0.5, v[44:45]
	v_add_f64 v[100:101], v[50:51], v[26:27]
	v_add_f64 v[102:103], v[28:29], v[16:17]
	v_add_f64 v[106:107], v[48:49], -v[24:25]
	v_fma_f64 v[96:97], v[96:97], -0.5, v[46:47]
	s_mov_b32 s10, 0x134454ff
	s_mov_b32 s11, 0xbfee6f0e
	;; [unrolled: 1-line block ×4, first 2 shown]
	v_add_f64 v[76:77], v[40:41], -v[20:21]
	v_add_f64 v[78:79], v[78:79], v[80:81]
	v_add_f64 v[80:81], v[50:51], -v[26:27]
	v_add_f64 v[84:85], v[84:85], v[86:87]
	v_fma_f64 v[86:87], v[72:73], s[18:19], v[82:83]
	v_add_f64 v[98:99], v[28:29], -v[16:17]
	v_add_f64 v[90:91], v[92:93], v[90:91]
	v_add_f64 v[92:93], v[28:29], -v[48:49]
	v_add_f64 v[104:105], v[16:17], -v[24:25]
	v_fma_f64 v[82:83], v[72:73], s[10:11], v[82:83]
	v_fma_f64 v[108:109], v[94:95], s[10:11], v[88:89]
	;; [unrolled: 1-line block ×3, first 2 shown]
	v_fma_f64 v[102:103], v[102:103], -0.5, v[44:45]
	v_fma_f64 v[114:115], v[106:107], s[10:11], v[96:97]
	v_fma_f64 v[100:101], v[100:101], -0.5, v[46:47]
	v_fma_f64 v[74:75], v[74:75], -0.5, v[38:39]
	s_mov_b32 s8, 0x4755a5e
	s_mov_b32 s9, 0xbfe2cf23
	;; [unrolled: 1-line block ×4, first 2 shown]
	v_fma_f64 v[86:87], v[76:77], s[8:9], v[86:87]
	v_add_f64 v[110:111], v[30:31], -v[50:51]
	v_add_f64 v[112:113], v[18:19], -v[26:27]
	v_add_f64 v[92:93], v[92:93], v[104:105]
	v_fma_f64 v[82:83], v[76:77], s[16:17], v[82:83]
	v_fma_f64 v[104:105], v[80:81], s[18:19], v[102:103]
	;; [unrolled: 1-line block ×10, first 2 shown]
	s_mov_b32 s14, 0x372fe950
	s_mov_b32 s15, 0x3fd3c6ef
	v_fma_f64 v[86:87], v[90:91], s[14:15], v[86:87]
	v_fma_f64 v[104:105], v[94:95], s[16:17], v[104:105]
	v_add_f64 v[110:111], v[110:111], v[112:113]
	v_fma_f64 v[82:83], v[90:91], s[14:15], v[82:83]
	v_fma_f64 v[90:91], v[84:85], s[14:15], v[114:115]
	;; [unrolled: 1-line block ×9, first 2 shown]
	v_add_f64 v[46:47], v[50:51], v[46:47]
	v_fma_f64 v[76:77], v[110:111], s[14:15], v[100:101]
	v_fma_f64 v[100:101], v[54:55], s[14:15], v[114:115]
	;; [unrolled: 1-line block ×3, first 2 shown]
	v_add_f64 v[50:51], v[40:41], -v[32:33]
	v_add_f64 v[44:45], v[48:49], v[44:45]
	v_add_f64 v[48:49], v[20:21], -v[12:13]
	v_add_f64 v[98:99], v[32:33], v[12:13]
	v_fma_f64 v[54:55], v[54:55], s[14:15], v[72:73]
	v_fma_f64 v[72:73], v[78:79], s[14:15], v[80:81]
	v_add_f64 v[78:79], v[20:21], v[40:41]
	s_mov_b32 s20, 0x9b97f4a8
	s_mov_b32 s21, 0xbfe9e377
	v_fma_f64 v[108:109], v[92:93], s[14:15], v[108:109]
	v_mul_f64 v[116:117], v[90:91], s[20:21]
	v_fma_f64 v[88:89], v[92:93], s[14:15], v[88:89]
	v_fma_f64 v[92:93], v[110:111], s[14:15], v[112:113]
	;; [unrolled: 1-line block ×3, first 2 shown]
	v_add_f64 v[48:49], v[48:49], v[50:51]
	v_mul_f64 v[50:51], v[90:91], s[8:9]
	v_fma_f64 v[84:85], v[98:99], -0.5, v[36:37]
	v_add_f64 v[90:91], v[32:33], -v[40:41]
	v_add_f64 v[94:95], v[12:13], -v[20:21]
	v_fma_f64 v[78:79], v[78:79], -0.5, v[36:37]
	v_add_f64 v[98:99], v[34:35], -v[14:15]
	s_mov_b32 s23, 0xbfd3c6ef
	s_mov_b32 s22, s14
	v_add_f64 v[38:39], v[38:39], v[42:43]
	v_add_f64 v[40:41], v[36:37], v[40:41]
	v_mul_f64 v[74:75], v[92:93], s[22:23]
	v_add_f64 v[42:43], v[42:43], -v[22:23]
	v_mul_f64 v[92:93], v[92:93], s[10:11]
	v_add_f64 v[90:91], v[94:95], v[90:91]
	v_fma_f64 v[94:95], v[98:99], s[10:11], v[78:79]
	v_fma_f64 v[78:79], v[98:99], s[18:19], v[78:79]
	v_add_f64 v[30:31], v[30:31], v[46:47]
	v_add_f64 v[34:35], v[34:35], v[38:39]
	;; [unrolled: 1-line block ×4, first 2 shown]
	v_fma_f64 v[38:39], v[108:109], s[22:23], v[92:93]
	v_fma_f64 v[46:47], v[42:43], s[18:19], v[84:85]
	;; [unrolled: 1-line block ×5, first 2 shown]
	v_add_f64 v[30:31], v[18:19], v[30:31]
	v_fma_f64 v[50:51], v[104:105], s[20:21], v[50:51]
	s_mov_b32 s21, 0x3fe9e377
	v_add_f64 v[34:35], v[14:15], v[34:35]
	v_add_f64 v[32:33], v[12:13], v[32:33]
	;; [unrolled: 1-line block ×3, first 2 shown]
	v_fma_f64 v[102:103], v[104:105], s[16:17], v[116:117]
	v_mul_f64 v[84:85], v[80:81], s[20:21]
	v_add_f64 v[104:105], v[26:27], v[30:31]
	v_fma_f64 v[30:31], v[98:99], s[8:9], v[42:43]
	v_mul_f64 v[28:29], v[80:81], s[8:9]
	v_mul_f64 v[96:97], v[76:77], s[14:15]
	;; [unrolled: 1-line block ×3, first 2 shown]
	v_fma_f64 v[46:47], v[98:99], s[16:17], v[46:47]
	v_fma_f64 v[74:75], v[108:109], s[18:19], v[74:75]
	v_add_f64 v[94:95], v[22:23], v[34:35]
	v_add_f64 v[20:21], v[20:21], v[32:33]
	;; [unrolled: 1-line block ×3, first 2 shown]
	v_fma_f64 v[84:85], v[72:73], s[16:17], v[84:85]
	v_fma_f64 v[80:81], v[48:49], s[14:15], v[30:31]
	;; [unrolled: 1-line block ×8, first 2 shown]
	v_add_f64 v[14:15], v[86:87], -v[74:75]
	v_add_f64 v[40:41], v[86:87], v[74:75]
	v_add_f64 v[74:75], v[94:95], v[104:105]
	;; [unrolled: 1-line block ×5, first 2 shown]
	v_add_f64 v[16:17], v[78:79], -v[42:43]
	v_add_f64 v[44:45], v[82:83], v[96:97]
	v_add_f64 v[42:43], v[78:79], v[42:43]
	v_add_f64 v[12:13], v[76:77], -v[38:39]
	v_add_f64 v[38:39], v[76:77], v[38:39]
	v_add_f64 v[30:31], v[100:101], v[102:103]
	;; [unrolled: 1-line block ×3, first 2 shown]
	v_add_f64 v[26:27], v[94:95], -v[104:105]
	v_add_f64 v[24:25], v[20:21], -v[24:25]
	;; [unrolled: 1-line block ×5, first 2 shown]
	v_lshl_add_u32 v32, v71, 4, v70
	v_add_f64 v[36:37], v[100:101], -v[102:103]
	v_add_f64 v[34:35], v[106:107], -v[50:51]
	ds_write_b128 v32, v[72:75]
	ds_write_b128 v32, v[46:49] offset:16
	ds_write_b128 v32, v[42:45] offset:32
	;; [unrolled: 1-line block ×9, first 2 shown]
.LBB0_13:
	s_or_b64 exec, exec, s[4:5]
	s_waitcnt lgkmcnt(0)
	s_barrier
	ds_read_b128 v[12:15], v69 offset:160
	ds_read_b128 v[16:19], v69 offset:320
	;; [unrolled: 1-line block ×3, first 2 shown]
	ds_read_b128 v[24:27], v69
	s_waitcnt lgkmcnt(3)
	v_mul_f64 v[28:29], v[10:11], v[14:15]
	v_mul_f64 v[10:11], v[10:11], v[12:13]
	s_waitcnt lgkmcnt(2)
	v_mul_f64 v[30:31], v[6:7], v[18:19]
	v_mul_f64 v[6:7], v[6:7], v[16:17]
	;; [unrolled: 3-line block ×3, first 2 shown]
	v_fma_f64 v[12:13], v[8:9], v[12:13], v[28:29]
	v_fma_f64 v[8:9], v[8:9], v[14:15], -v[10:11]
	v_fma_f64 v[10:11], v[4:5], v[16:17], v[30:31]
	v_fma_f64 v[4:5], v[4:5], v[18:19], -v[6:7]
	;; [unrolled: 2-line block ×3, first 2 shown]
	s_waitcnt lgkmcnt(0)
	v_add_f64 v[10:11], v[24:25], -v[10:11]
	v_add_f64 v[14:15], v[26:27], -v[4:5]
	;; [unrolled: 1-line block ×4, first 2 shown]
	v_fma_f64 v[16:17], v[24:25], 2.0, -v[10:11]
	v_fma_f64 v[18:19], v[26:27], 2.0, -v[14:15]
	;; [unrolled: 1-line block ×4, first 2 shown]
	v_add_f64 v[0:1], v[10:11], v[0:1]
	v_add_f64 v[2:3], v[14:15], -v[2:3]
	v_add_f64 v[4:5], v[16:17], -v[4:5]
	v_add_f64 v[6:7], v[18:19], -v[6:7]
	v_fma_f64 v[8:9], v[10:11], 2.0, -v[0:1]
	v_fma_f64 v[10:11], v[14:15], 2.0, -v[2:3]
	;; [unrolled: 1-line block ×4, first 2 shown]
	ds_write_b128 v53, v[0:3] offset:480
	ds_write_b128 v53, v[8:11] offset:160
	;; [unrolled: 1-line block ×3, first 2 shown]
	ds_write_b128 v53, v[12:15]
	s_waitcnt lgkmcnt(0)
	s_barrier
	s_and_b64 exec, exec, vcc
	s_cbranch_execz .LBB0_15
; %bb.14:
	global_load_dwordx4 v[0:3], v67, s[12:13]
	global_load_dwordx4 v[4:7], v67, s[12:13] offset:64
	global_load_dwordx4 v[8:11], v67, s[12:13] offset:128
	;; [unrolled: 1-line block ×3, first 2 shown]
	ds_read_b128 v[16:19], v68
	ds_read_b128 v[20:23], v53 offset:64
	ds_read_b128 v[24:27], v53 offset:128
	global_load_dwordx4 v[28:31], v67, s[12:13] offset:256
	ds_read_b128 v[32:35], v53 offset:192
	ds_read_b128 v[36:39], v53 offset:256
	global_load_dwordx4 v[40:43], v67, s[12:13] offset:320
	global_load_dwordx4 v[44:47], v67, s[12:13] offset:384
	;; [unrolled: 1-line block ×5, first 2 shown]
	v_mad_u64_u32 v[76:77], s[8:9], s0, v63, 0
	v_mad_u64_u32 v[54:55], s[4:5], s2, v52, 0
	;; [unrolled: 1-line block ×4, first 2 shown]
	v_mov_b32_e32 v56, v77
	v_mad_u64_u32 v[82:83], s[8:9], s0, v66, 0
	v_mad_u64_u32 v[86:87], s[2:3], s3, v52, v[55:56]
	v_mov_b32_e32 v67, v79
	v_mov_b32_e32 v77, v81
	v_mad_u64_u32 v[87:88], s[2:3], s1, v63, v[56:57]
	v_mov_b32_e32 v79, v83
	v_mov_b32_e32 v55, v86
	v_lshlrev_b64 v[54:55], 4, v[54:55]
	v_mov_b32_e32 v89, s7
	v_add_co_u32_e32 v52, vcc, s6, v54
	v_addc_co_u32_e32 v56, vcc, v89, v55, vcc
	s_mov_b32 s4, 0x9999999a
	s_mov_b32 s5, 0x3f999999
	v_mad_u64_u32 v[84:85], s[8:9], s0, v62, 0
	s_waitcnt vmcnt(1)
	v_mad_u64_u32 v[63:64], s[2:3], s1, v64, v[67:68]
	v_mad_u64_u32 v[64:65], s[2:3], s1, v65, v[77:78]
	v_mad_u64_u32 v[65:66], s[2:3], s1, v66, v[79:80]
	v_mov_b32_e32 v77, v87
	v_mov_b32_e32 v79, v63
	;; [unrolled: 1-line block ×3, first 2 shown]
	v_lshlrev_b64 v[63:64], 4, v[76:77]
	v_mov_b32_e32 v83, v65
	v_lshlrev_b64 v[65:66], 4, v[78:79]
	v_add_co_u32_e32 v54, vcc, v52, v63
	v_addc_co_u32_e32 v55, vcc, v56, v64, vcc
	v_lshlrev_b64 v[76:77], 4, v[80:81]
	v_add_co_u32_e32 v63, vcc, v52, v65
	v_addc_co_u32_e32 v64, vcc, v56, v66, vcc
	v_add_co_u32_e32 v65, vcc, v52, v76
	v_addc_co_u32_e32 v66, vcc, v56, v77, vcc
	s_waitcnt lgkmcnt(4)
	v_mul_f64 v[76:77], v[18:19], v[2:3]
	v_mul_f64 v[2:3], v[16:17], v[2:3]
	s_waitcnt lgkmcnt(3)
	v_mul_f64 v[80:81], v[22:23], v[6:7]
	v_mul_f64 v[6:7], v[20:21], v[6:7]
	v_lshlrev_b64 v[78:79], 4, v[82:83]
	s_waitcnt lgkmcnt(2)
	v_mul_f64 v[82:83], v[26:27], v[10:11]
	v_mul_f64 v[10:11], v[24:25], v[10:11]
	s_waitcnt lgkmcnt(1)
	v_mul_f64 v[86:87], v[34:35], v[14:15]
	v_fma_f64 v[16:17], v[16:17], v[0:1], v[76:77]
	v_fma_f64 v[2:3], v[0:1], v[18:19], -v[2:3]
	v_fma_f64 v[18:19], v[20:21], v[4:5], v[80:81]
	v_fma_f64 v[6:7], v[4:5], v[22:23], -v[6:7]
	v_mul_f64 v[14:15], v[32:33], v[14:15]
	v_fma_f64 v[20:21], v[24:25], v[8:9], v[82:83]
	v_fma_f64 v[10:11], v[8:9], v[26:27], -v[10:11]
	v_fma_f64 v[22:23], v[32:33], v[12:13], v[86:87]
	v_mul_f64 v[0:1], v[16:17], s[4:5]
	v_mul_f64 v[2:3], v[2:3], s[4:5]
	;; [unrolled: 1-line block ×4, first 2 shown]
	s_waitcnt lgkmcnt(0)
	v_mul_f64 v[18:19], v[38:39], v[30:31]
	v_mul_f64 v[8:9], v[20:21], s[4:5]
	;; [unrolled: 1-line block ×4, first 2 shown]
	v_fma_f64 v[14:15], v[12:13], v[34:35], -v[14:15]
	global_store_dwordx4 v[54:55], v[0:3], off
	global_store_dwordx4 v[63:64], v[4:7], off
	;; [unrolled: 1-line block ×3, first 2 shown]
	ds_read_b128 v[0:3], v53 offset:320
	ds_read_b128 v[4:7], v53 offset:384
	v_fma_f64 v[8:9], v[36:37], v[28:29], v[18:19]
	v_fma_f64 v[10:11], v[28:29], v[38:39], -v[20:21]
	v_mul_f64 v[12:13], v[22:23], s[4:5]
	s_waitcnt lgkmcnt(1)
	v_mul_f64 v[19:20], v[2:3], v[42:43]
	v_mul_f64 v[14:15], v[14:15], s[4:5]
	v_add_co_u32_e32 v16, vcc, v52, v78
	v_mov_b32_e32 v18, v85
	v_addc_co_u32_e32 v17, vcc, v56, v79, vcc
	v_mul_f64 v[8:9], v[8:9], s[4:5]
	v_mad_u64_u32 v[23:24], s[2:3], s1, v62, v[18:19]
	global_store_dwordx4 v[16:17], v[12:15], off
	v_mul_f64 v[10:11], v[10:11], s[4:5]
	v_mad_u64_u32 v[14:15], s[2:3], s0, v61, 0
	v_mul_f64 v[21:22], v[0:1], v[42:43]
	v_mov_b32_e32 v85, v23
	v_lshlrev_b64 v[12:13], 4, v[84:85]
	v_mad_u64_u32 v[15:16], s[2:3], s1, v61, v[15:16]
	v_add_co_u32_e32 v12, vcc, v52, v12
	v_addc_co_u32_e32 v13, vcc, v56, v13, vcc
	global_store_dwordx4 v[12:13], v[8:11], off
	s_waitcnt lgkmcnt(0)
	v_mul_f64 v[12:13], v[6:7], v[46:47]
	v_lshlrev_b64 v[8:9], 4, v[14:15]
	v_mul_f64 v[14:15], v[4:5], v[46:47]
	v_fma_f64 v[0:1], v[0:1], v[40:41], v[19:20]
	v_fma_f64 v[2:3], v[40:41], v[2:3], -v[21:22]
	v_add_co_u32_e32 v16, vcc, v52, v8
	v_addc_co_u32_e32 v17, vcc, v56, v9, vcc
	ds_read_b128 v[8:11], v53 offset:448
	v_fma_f64 v[12:13], v[4:5], v[44:45], v[12:13]
	v_fma_f64 v[14:15], v[44:45], v[6:7], -v[14:15]
	ds_read_b128 v[4:7], v53 offset:512
	v_mul_f64 v[0:1], v[0:1], s[4:5]
	s_waitcnt lgkmcnt(1)
	v_mul_f64 v[20:21], v[10:11], v[50:51]
	v_mul_f64 v[2:3], v[2:3], s[4:5]
	v_mad_u64_u32 v[18:19], s[2:3], s0, v60, 0
	v_mul_f64 v[22:23], v[8:9], v[50:51]
	v_mad_u64_u32 v[24:25], s[2:3], s1, v60, v[19:20]
	global_store_dwordx4 v[16:17], v[0:3], off
	v_fma_f64 v[8:9], v[8:9], v[48:49], v[20:21]
	v_mul_f64 v[0:1], v[12:13], s[4:5]
	v_mul_f64 v[2:3], v[14:15], s[4:5]
	v_mad_u64_u32 v[14:15], s[2:3], s0, v59, 0
	v_mov_b32_e32 v19, v24
	v_fma_f64 v[10:11], v[48:49], v[10:11], -v[22:23]
	v_lshlrev_b64 v[12:13], 4, v[18:19]
	v_mad_u64_u32 v[15:16], s[2:3], s1, v59, v[15:16]
	v_add_co_u32_e32 v12, vcc, v52, v12
	v_addc_co_u32_e32 v13, vcc, v56, v13, vcc
	global_store_dwordx4 v[12:13], v[0:3], off
	v_lshlrev_b64 v[12:13], 4, v[14:15]
	s_waitcnt lgkmcnt(0)
	v_mul_f64 v[14:15], v[6:7], v[70:71]
	v_mul_f64 v[16:17], v[4:5], v[70:71]
	;; [unrolled: 1-line block ×4, first 2 shown]
	ds_read_b128 v[8:11], v53 offset:576
	v_mad_u64_u32 v[18:19], s[2:3], s0, v58, 0
	v_add_co_u32_e32 v12, vcc, v52, v12
	v_fma_f64 v[4:5], v[4:5], v[68:69], v[14:15]
	v_fma_f64 v[6:7], v[68:69], v[6:7], -v[16:17]
	s_waitcnt vmcnt(7) lgkmcnt(0)
	v_mul_f64 v[15:16], v[10:11], v[74:75]
	v_mul_f64 v[20:21], v[8:9], v[74:75]
	v_mov_b32_e32 v14, v19
	v_addc_co_u32_e32 v13, vcc, v56, v13, vcc
	global_store_dwordx4 v[12:13], v[0:3], off
	v_mad_u64_u32 v[22:23], s[2:3], s1, v58, v[14:15]
	v_mul_f64 v[2:3], v[6:7], s[4:5]
	v_fma_f64 v[6:7], v[8:9], v[72:73], v[15:16]
	v_fma_f64 v[8:9], v[72:73], v[10:11], -v[20:21]
	v_mad_u64_u32 v[10:11], s[2:3], s0, v57, 0
	v_mov_b32_e32 v19, v22
	v_mul_f64 v[0:1], v[4:5], s[4:5]
	v_lshlrev_b64 v[4:5], 4, v[18:19]
	v_add_co_u32_e32 v12, vcc, v52, v4
	v_mov_b32_e32 v4, v11
	v_mad_u64_u32 v[14:15], s[0:1], s1, v57, v[4:5]
	v_addc_co_u32_e32 v13, vcc, v56, v5, vcc
	v_mul_f64 v[4:5], v[6:7], s[4:5]
	v_mul_f64 v[6:7], v[8:9], s[4:5]
	v_mov_b32_e32 v11, v14
	global_store_dwordx4 v[12:13], v[0:3], off
	s_nop 0
	v_lshlrev_b64 v[0:1], 4, v[10:11]
	v_add_co_u32_e32 v0, vcc, v52, v0
	v_addc_co_u32_e32 v1, vcc, v56, v1, vcc
	global_store_dwordx4 v[0:1], v[4:7], off
.LBB0_15:
	s_endpgm
	.section	.rodata,"a",@progbits
	.p2align	6, 0x0
	.amdhsa_kernel bluestein_single_back_len40_dim1_dp_op_CI_CI
		.amdhsa_group_segment_fixed_size 7680
		.amdhsa_private_segment_fixed_size 0
		.amdhsa_kernarg_size 104
		.amdhsa_user_sgpr_count 6
		.amdhsa_user_sgpr_private_segment_buffer 1
		.amdhsa_user_sgpr_dispatch_ptr 0
		.amdhsa_user_sgpr_queue_ptr 0
		.amdhsa_user_sgpr_kernarg_segment_ptr 1
		.amdhsa_user_sgpr_dispatch_id 0
		.amdhsa_user_sgpr_flat_scratch_init 0
		.amdhsa_user_sgpr_private_segment_size 0
		.amdhsa_uses_dynamic_stack 0
		.amdhsa_system_sgpr_private_segment_wavefront_offset 0
		.amdhsa_system_sgpr_workgroup_id_x 1
		.amdhsa_system_sgpr_workgroup_id_y 0
		.amdhsa_system_sgpr_workgroup_id_z 0
		.amdhsa_system_sgpr_workgroup_info 0
		.amdhsa_system_vgpr_workitem_id 0
		.amdhsa_next_free_vgpr 120
		.amdhsa_next_free_sgpr 24
		.amdhsa_reserve_vcc 1
		.amdhsa_reserve_flat_scratch 0
		.amdhsa_float_round_mode_32 0
		.amdhsa_float_round_mode_16_64 0
		.amdhsa_float_denorm_mode_32 3
		.amdhsa_float_denorm_mode_16_64 3
		.amdhsa_dx10_clamp 1
		.amdhsa_ieee_mode 1
		.amdhsa_fp16_overflow 0
		.amdhsa_exception_fp_ieee_invalid_op 0
		.amdhsa_exception_fp_denorm_src 0
		.amdhsa_exception_fp_ieee_div_zero 0
		.amdhsa_exception_fp_ieee_overflow 0
		.amdhsa_exception_fp_ieee_underflow 0
		.amdhsa_exception_fp_ieee_inexact 0
		.amdhsa_exception_int_div_zero 0
	.end_amdhsa_kernel
	.text
.Lfunc_end0:
	.size	bluestein_single_back_len40_dim1_dp_op_CI_CI, .Lfunc_end0-bluestein_single_back_len40_dim1_dp_op_CI_CI
                                        ; -- End function
	.section	.AMDGPU.csdata,"",@progbits
; Kernel info:
; codeLenInByte = 6860
; NumSgprs: 28
; NumVgprs: 120
; ScratchSize: 0
; MemoryBound: 0
; FloatMode: 240
; IeeeMode: 1
; LDSByteSize: 7680 bytes/workgroup (compile time only)
; SGPRBlocks: 3
; VGPRBlocks: 29
; NumSGPRsForWavesPerEU: 28
; NumVGPRsForWavesPerEU: 120
; Occupancy: 2
; WaveLimiterHint : 1
; COMPUTE_PGM_RSRC2:SCRATCH_EN: 0
; COMPUTE_PGM_RSRC2:USER_SGPR: 6
; COMPUTE_PGM_RSRC2:TRAP_HANDLER: 0
; COMPUTE_PGM_RSRC2:TGID_X_EN: 1
; COMPUTE_PGM_RSRC2:TGID_Y_EN: 0
; COMPUTE_PGM_RSRC2:TGID_Z_EN: 0
; COMPUTE_PGM_RSRC2:TIDIG_COMP_CNT: 0
	.type	__hip_cuid_5bf352c8251d93a2,@object ; @__hip_cuid_5bf352c8251d93a2
	.section	.bss,"aw",@nobits
	.globl	__hip_cuid_5bf352c8251d93a2
__hip_cuid_5bf352c8251d93a2:
	.byte	0                               ; 0x0
	.size	__hip_cuid_5bf352c8251d93a2, 1

	.ident	"AMD clang version 19.0.0git (https://github.com/RadeonOpenCompute/llvm-project roc-6.4.0 25133 c7fe45cf4b819c5991fe208aaa96edf142730f1d)"
	.section	".note.GNU-stack","",@progbits
	.addrsig
	.addrsig_sym __hip_cuid_5bf352c8251d93a2
	.amdgpu_metadata
---
amdhsa.kernels:
  - .args:
      - .actual_access:  read_only
        .address_space:  global
        .offset:         0
        .size:           8
        .value_kind:     global_buffer
      - .actual_access:  read_only
        .address_space:  global
        .offset:         8
        .size:           8
        .value_kind:     global_buffer
      - .actual_access:  read_only
        .address_space:  global
        .offset:         16
        .size:           8
        .value_kind:     global_buffer
      - .actual_access:  read_only
        .address_space:  global
        .offset:         24
        .size:           8
        .value_kind:     global_buffer
      - .actual_access:  read_only
        .address_space:  global
        .offset:         32
        .size:           8
        .value_kind:     global_buffer
      - .offset:         40
        .size:           8
        .value_kind:     by_value
      - .address_space:  global
        .offset:         48
        .size:           8
        .value_kind:     global_buffer
      - .address_space:  global
        .offset:         56
        .size:           8
        .value_kind:     global_buffer
      - .address_space:  global
        .offset:         64
        .size:           8
        .value_kind:     global_buffer
      - .address_space:  global
        .offset:         72
        .size:           8
        .value_kind:     global_buffer
      - .offset:         80
        .size:           4
        .value_kind:     by_value
      - .address_space:  global
        .offset:         88
        .size:           8
        .value_kind:     global_buffer
      - .address_space:  global
        .offset:         96
        .size:           8
        .value_kind:     global_buffer
    .group_segment_fixed_size: 7680
    .kernarg_segment_align: 8
    .kernarg_segment_size: 104
    .language:       OpenCL C
    .language_version:
      - 2
      - 0
    .max_flat_workgroup_size: 120
    .name:           bluestein_single_back_len40_dim1_dp_op_CI_CI
    .private_segment_fixed_size: 0
    .sgpr_count:     28
    .sgpr_spill_count: 0
    .symbol:         bluestein_single_back_len40_dim1_dp_op_CI_CI.kd
    .uniform_work_group_size: 1
    .uses_dynamic_stack: false
    .vgpr_count:     120
    .vgpr_spill_count: 0
    .wavefront_size: 64
amdhsa.target:   amdgcn-amd-amdhsa--gfx906
amdhsa.version:
  - 1
  - 2
...

	.end_amdgpu_metadata
